;; amdgpu-corpus repo=ROCm/rocFFT kind=compiled arch=gfx1201 opt=O3
	.text
	.amdgcn_target "amdgcn-amd-amdhsa--gfx1201"
	.amdhsa_code_object_version 6
	.protected	fft_rtc_fwd_len300_factors_10_10_3_wgs_60_tpt_30_halfLds_sp_op_CI_CI_unitstride_sbrr_C2R_dirReg ; -- Begin function fft_rtc_fwd_len300_factors_10_10_3_wgs_60_tpt_30_halfLds_sp_op_CI_CI_unitstride_sbrr_C2R_dirReg
	.globl	fft_rtc_fwd_len300_factors_10_10_3_wgs_60_tpt_30_halfLds_sp_op_CI_CI_unitstride_sbrr_C2R_dirReg
	.p2align	8
	.type	fft_rtc_fwd_len300_factors_10_10_3_wgs_60_tpt_30_halfLds_sp_op_CI_CI_unitstride_sbrr_C2R_dirReg,@function
fft_rtc_fwd_len300_factors_10_10_3_wgs_60_tpt_30_halfLds_sp_op_CI_CI_unitstride_sbrr_C2R_dirReg: ; @fft_rtc_fwd_len300_factors_10_10_3_wgs_60_tpt_30_halfLds_sp_op_CI_CI_unitstride_sbrr_C2R_dirReg
; %bb.0:
	s_clause 0x2
	s_load_b128 s[8:11], s[0:1], 0x0
	s_load_b128 s[4:7], s[0:1], 0x58
	;; [unrolled: 1-line block ×3, first 2 shown]
	v_mul_u32_u24_e32 v1, 0x889, v0
	v_mov_b32_e32 v3, 0
	s_delay_alu instid0(VALU_DEP_2) | instskip(SKIP_2) | instid1(VALU_DEP_4)
	v_lshrrev_b32_e32 v7, 16, v1
	v_mov_b32_e32 v1, 0
	v_mov_b32_e32 v2, 0
	;; [unrolled: 1-line block ×3, first 2 shown]
	s_delay_alu instid0(VALU_DEP_4) | instskip(SKIP_2) | instid1(VALU_DEP_1)
	v_lshl_add_u32 v5, ttmp9, 1, v7
	s_wait_kmcnt 0x0
	v_cmp_lt_u64_e64 s2, s[10:11], 2
	s_and_b32 vcc_lo, exec_lo, s2
	s_cbranch_vccnz .LBB0_8
; %bb.1:
	s_load_b64 s[2:3], s[0:1], 0x10
	v_mov_b32_e32 v1, 0
	v_mov_b32_e32 v2, 0
	s_add_nc_u64 s[16:17], s[14:15], 8
	s_add_nc_u64 s[18:19], s[12:13], 8
	s_mov_b64 s[20:21], 1
	s_delay_alu instid0(VALU_DEP_1)
	v_dual_mov_b32 v21, v2 :: v_dual_mov_b32 v20, v1
	s_wait_kmcnt 0x0
	s_add_nc_u64 s[22:23], s[2:3], 8
	s_mov_b32 s3, 0
.LBB0_2:                                ; =>This Inner Loop Header: Depth=1
	s_load_b64 s[24:25], s[22:23], 0x0
                                        ; implicit-def: $vgpr24_vgpr25
	s_mov_b32 s2, exec_lo
	s_wait_kmcnt 0x0
	v_or_b32_e32 v4, s25, v6
	s_delay_alu instid0(VALU_DEP_1)
	v_cmpx_ne_u64_e32 0, v[3:4]
	s_wait_alu 0xfffe
	s_xor_b32 s26, exec_lo, s2
	s_cbranch_execz .LBB0_4
; %bb.3:                                ;   in Loop: Header=BB0_2 Depth=1
	s_cvt_f32_u32 s2, s24
	s_cvt_f32_u32 s27, s25
	s_sub_nc_u64 s[30:31], 0, s[24:25]
	s_wait_alu 0xfffe
	s_delay_alu instid0(SALU_CYCLE_1) | instskip(SKIP_1) | instid1(SALU_CYCLE_2)
	s_fmamk_f32 s2, s27, 0x4f800000, s2
	s_wait_alu 0xfffe
	v_s_rcp_f32 s2, s2
	s_delay_alu instid0(TRANS32_DEP_1) | instskip(SKIP_1) | instid1(SALU_CYCLE_2)
	s_mul_f32 s2, s2, 0x5f7ffffc
	s_wait_alu 0xfffe
	s_mul_f32 s27, s2, 0x2f800000
	s_wait_alu 0xfffe
	s_delay_alu instid0(SALU_CYCLE_2) | instskip(SKIP_1) | instid1(SALU_CYCLE_2)
	s_trunc_f32 s27, s27
	s_wait_alu 0xfffe
	s_fmamk_f32 s2, s27, 0xcf800000, s2
	s_cvt_u32_f32 s29, s27
	s_wait_alu 0xfffe
	s_delay_alu instid0(SALU_CYCLE_1) | instskip(SKIP_1) | instid1(SALU_CYCLE_2)
	s_cvt_u32_f32 s28, s2
	s_wait_alu 0xfffe
	s_mul_u64 s[34:35], s[30:31], s[28:29]
	s_wait_alu 0xfffe
	s_mul_hi_u32 s37, s28, s35
	s_mul_i32 s36, s28, s35
	s_mul_hi_u32 s2, s28, s34
	s_mul_i32 s33, s29, s34
	s_wait_alu 0xfffe
	s_add_nc_u64 s[36:37], s[2:3], s[36:37]
	s_mul_hi_u32 s27, s29, s34
	s_mul_hi_u32 s38, s29, s35
	s_add_co_u32 s2, s36, s33
	s_wait_alu 0xfffe
	s_add_co_ci_u32 s2, s37, s27
	s_mul_i32 s34, s29, s35
	s_add_co_ci_u32 s35, s38, 0
	s_wait_alu 0xfffe
	s_add_nc_u64 s[34:35], s[2:3], s[34:35]
	s_wait_alu 0xfffe
	v_add_co_u32 v4, s2, s28, s34
	s_delay_alu instid0(VALU_DEP_1) | instskip(SKIP_1) | instid1(VALU_DEP_1)
	s_cmp_lg_u32 s2, 0
	s_add_co_ci_u32 s29, s29, s35
	v_readfirstlane_b32 s28, v4
	s_wait_alu 0xfffe
	s_delay_alu instid0(VALU_DEP_1)
	s_mul_u64 s[30:31], s[30:31], s[28:29]
	s_wait_alu 0xfffe
	s_mul_hi_u32 s35, s28, s31
	s_mul_i32 s34, s28, s31
	s_mul_hi_u32 s2, s28, s30
	s_mul_i32 s33, s29, s30
	s_wait_alu 0xfffe
	s_add_nc_u64 s[34:35], s[2:3], s[34:35]
	s_mul_hi_u32 s27, s29, s30
	s_mul_hi_u32 s28, s29, s31
	s_wait_alu 0xfffe
	s_add_co_u32 s2, s34, s33
	s_add_co_ci_u32 s2, s35, s27
	s_mul_i32 s30, s29, s31
	s_add_co_ci_u32 s31, s28, 0
	s_wait_alu 0xfffe
	s_add_nc_u64 s[30:31], s[2:3], s[30:31]
	s_wait_alu 0xfffe
	v_add_co_u32 v4, s2, v4, s30
	s_delay_alu instid0(VALU_DEP_1) | instskip(SKIP_1) | instid1(VALU_DEP_1)
	s_cmp_lg_u32 s2, 0
	s_add_co_ci_u32 s2, s29, s31
	v_mul_hi_u32 v14, v5, v4
	s_wait_alu 0xfffe
	v_mad_co_u64_u32 v[8:9], null, v5, s2, 0
	v_mad_co_u64_u32 v[10:11], null, v6, v4, 0
	;; [unrolled: 1-line block ×3, first 2 shown]
	s_delay_alu instid0(VALU_DEP_3) | instskip(SKIP_1) | instid1(VALU_DEP_4)
	v_add_co_u32 v4, vcc_lo, v14, v8
	s_wait_alu 0xfffd
	v_add_co_ci_u32_e32 v8, vcc_lo, 0, v9, vcc_lo
	s_delay_alu instid0(VALU_DEP_2) | instskip(SKIP_1) | instid1(VALU_DEP_2)
	v_add_co_u32 v4, vcc_lo, v4, v10
	s_wait_alu 0xfffd
	v_add_co_ci_u32_e32 v4, vcc_lo, v8, v11, vcc_lo
	s_wait_alu 0xfffd
	v_add_co_ci_u32_e32 v8, vcc_lo, 0, v13, vcc_lo
	s_delay_alu instid0(VALU_DEP_2) | instskip(SKIP_1) | instid1(VALU_DEP_2)
	v_add_co_u32 v4, vcc_lo, v4, v12
	s_wait_alu 0xfffd
	v_add_co_ci_u32_e32 v10, vcc_lo, 0, v8, vcc_lo
	s_delay_alu instid0(VALU_DEP_2) | instskip(SKIP_1) | instid1(VALU_DEP_3)
	v_mul_lo_u32 v11, s25, v4
	v_mad_co_u64_u32 v[8:9], null, s24, v4, 0
	v_mul_lo_u32 v12, s24, v10
	s_delay_alu instid0(VALU_DEP_2) | instskip(NEXT) | instid1(VALU_DEP_2)
	v_sub_co_u32 v8, vcc_lo, v5, v8
	v_add3_u32 v9, v9, v12, v11
	s_delay_alu instid0(VALU_DEP_1) | instskip(SKIP_1) | instid1(VALU_DEP_1)
	v_sub_nc_u32_e32 v11, v6, v9
	s_wait_alu 0xfffd
	v_subrev_co_ci_u32_e64 v11, s2, s25, v11, vcc_lo
	v_add_co_u32 v12, s2, v4, 2
	s_wait_alu 0xf1ff
	v_add_co_ci_u32_e64 v13, s2, 0, v10, s2
	v_sub_co_u32 v14, s2, v8, s24
	v_sub_co_ci_u32_e32 v9, vcc_lo, v6, v9, vcc_lo
	s_wait_alu 0xf1ff
	v_subrev_co_ci_u32_e64 v11, s2, 0, v11, s2
	s_delay_alu instid0(VALU_DEP_3) | instskip(NEXT) | instid1(VALU_DEP_3)
	v_cmp_le_u32_e32 vcc_lo, s24, v14
	v_cmp_eq_u32_e64 s2, s25, v9
	s_wait_alu 0xfffd
	v_cndmask_b32_e64 v14, 0, -1, vcc_lo
	v_cmp_le_u32_e32 vcc_lo, s25, v11
	s_wait_alu 0xfffd
	v_cndmask_b32_e64 v15, 0, -1, vcc_lo
	v_cmp_le_u32_e32 vcc_lo, s24, v8
	;; [unrolled: 3-line block ×3, first 2 shown]
	s_wait_alu 0xfffd
	v_cndmask_b32_e64 v16, 0, -1, vcc_lo
	v_cmp_eq_u32_e32 vcc_lo, s25, v11
	s_wait_alu 0xf1ff
	s_delay_alu instid0(VALU_DEP_2)
	v_cndmask_b32_e64 v8, v16, v8, s2
	s_wait_alu 0xfffd
	v_cndmask_b32_e32 v11, v15, v14, vcc_lo
	v_add_co_u32 v14, vcc_lo, v4, 1
	s_wait_alu 0xfffd
	v_add_co_ci_u32_e32 v15, vcc_lo, 0, v10, vcc_lo
	s_delay_alu instid0(VALU_DEP_3) | instskip(SKIP_2) | instid1(VALU_DEP_3)
	v_cmp_ne_u32_e32 vcc_lo, 0, v11
	s_wait_alu 0xfffd
	v_cndmask_b32_e32 v11, v14, v12, vcc_lo
	v_cndmask_b32_e32 v9, v15, v13, vcc_lo
	v_cmp_ne_u32_e32 vcc_lo, 0, v8
	s_wait_alu 0xfffd
	s_delay_alu instid0(VALU_DEP_2)
	v_dual_cndmask_b32 v24, v4, v11 :: v_dual_cndmask_b32 v25, v10, v9
.LBB0_4:                                ;   in Loop: Header=BB0_2 Depth=1
	s_wait_alu 0xfffe
	s_and_not1_saveexec_b32 s2, s26
	s_cbranch_execz .LBB0_6
; %bb.5:                                ;   in Loop: Header=BB0_2 Depth=1
	v_cvt_f32_u32_e32 v4, s24
	s_sub_co_i32 s26, 0, s24
	v_mov_b32_e32 v25, v3
	s_delay_alu instid0(VALU_DEP_2) | instskip(NEXT) | instid1(TRANS32_DEP_1)
	v_rcp_iflag_f32_e32 v4, v4
	v_mul_f32_e32 v4, 0x4f7ffffe, v4
	s_delay_alu instid0(VALU_DEP_1) | instskip(SKIP_1) | instid1(VALU_DEP_1)
	v_cvt_u32_f32_e32 v4, v4
	s_wait_alu 0xfffe
	v_mul_lo_u32 v8, s26, v4
	s_delay_alu instid0(VALU_DEP_1) | instskip(NEXT) | instid1(VALU_DEP_1)
	v_mul_hi_u32 v8, v4, v8
	v_add_nc_u32_e32 v4, v4, v8
	s_delay_alu instid0(VALU_DEP_1) | instskip(NEXT) | instid1(VALU_DEP_1)
	v_mul_hi_u32 v4, v5, v4
	v_mul_lo_u32 v8, v4, s24
	s_delay_alu instid0(VALU_DEP_1) | instskip(NEXT) | instid1(VALU_DEP_1)
	v_sub_nc_u32_e32 v8, v5, v8
	v_subrev_nc_u32_e32 v10, s24, v8
	v_cmp_le_u32_e32 vcc_lo, s24, v8
	s_wait_alu 0xfffd
	s_delay_alu instid0(VALU_DEP_2) | instskip(NEXT) | instid1(VALU_DEP_1)
	v_dual_cndmask_b32 v8, v8, v10 :: v_dual_add_nc_u32 v9, 1, v4
	v_cndmask_b32_e32 v4, v4, v9, vcc_lo
	s_delay_alu instid0(VALU_DEP_2) | instskip(NEXT) | instid1(VALU_DEP_2)
	v_cmp_le_u32_e32 vcc_lo, s24, v8
	v_add_nc_u32_e32 v9, 1, v4
	s_wait_alu 0xfffd
	s_delay_alu instid0(VALU_DEP_1)
	v_cndmask_b32_e32 v24, v4, v9, vcc_lo
.LBB0_6:                                ;   in Loop: Header=BB0_2 Depth=1
	s_wait_alu 0xfffe
	s_or_b32 exec_lo, exec_lo, s2
	v_mul_lo_u32 v4, v25, s24
	s_delay_alu instid0(VALU_DEP_2)
	v_mul_lo_u32 v10, v24, s25
	s_load_b64 s[26:27], s[18:19], 0x0
	v_mad_co_u64_u32 v[8:9], null, v24, s24, 0
	s_load_b64 s[24:25], s[16:17], 0x0
	s_add_nc_u64 s[20:21], s[20:21], 1
	s_add_nc_u64 s[16:17], s[16:17], 8
	s_wait_alu 0xfffe
	v_cmp_ge_u64_e64 s2, s[20:21], s[10:11]
	s_add_nc_u64 s[18:19], s[18:19], 8
	s_add_nc_u64 s[22:23], s[22:23], 8
	v_add3_u32 v4, v9, v10, v4
	v_sub_co_u32 v5, vcc_lo, v5, v8
	s_wait_alu 0xfffd
	s_delay_alu instid0(VALU_DEP_2) | instskip(SKIP_2) | instid1(VALU_DEP_1)
	v_sub_co_ci_u32_e32 v4, vcc_lo, v6, v4, vcc_lo
	s_and_b32 vcc_lo, exec_lo, s2
	s_wait_kmcnt 0x0
	v_mul_lo_u32 v6, s26, v4
	v_mul_lo_u32 v8, s27, v5
	v_mad_co_u64_u32 v[1:2], null, s26, v5, v[1:2]
	v_mul_lo_u32 v4, s24, v4
	v_mul_lo_u32 v9, s25, v5
	v_mad_co_u64_u32 v[20:21], null, s24, v5, v[20:21]
	s_delay_alu instid0(VALU_DEP_4) | instskip(NEXT) | instid1(VALU_DEP_2)
	v_add3_u32 v2, v8, v2, v6
	v_add3_u32 v21, v9, v21, v4
	s_wait_alu 0xfffe
	s_cbranch_vccnz .LBB0_9
; %bb.7:                                ;   in Loop: Header=BB0_2 Depth=1
	v_dual_mov_b32 v5, v24 :: v_dual_mov_b32 v6, v25
	s_branch .LBB0_2
.LBB0_8:
	v_dual_mov_b32 v21, v2 :: v_dual_mov_b32 v20, v1
	v_dual_mov_b32 v25, v6 :: v_dual_mov_b32 v24, v5
.LBB0_9:
	s_load_b64 s[0:1], s[0:1], 0x28
	v_and_b32_e32 v3, 1, v7
	v_mul_hi_u32 v4, 0x8888889, v0
	s_lshl_b64 s[10:11], s[10:11], 3
                                        ; implicit-def: $vgpr22
	s_wait_alu 0xfffe
	s_add_nc_u64 s[2:3], s[14:15], s[10:11]
	s_wait_kmcnt 0x0
	v_cmp_gt_u64_e32 vcc_lo, s[0:1], v[24:25]
	v_cmp_le_u64_e64 s1, s[0:1], v[24:25]
	v_cmp_eq_u32_e64 s0, 1, v3
	s_delay_alu instid0(VALU_DEP_2) | instskip(NEXT) | instid1(SALU_CYCLE_1)
	s_and_saveexec_b32 s14, s1
	s_xor_b32 s1, exec_lo, s14
; %bb.10:
	v_mul_u32_u24_e32 v1, 30, v4
                                        ; implicit-def: $vgpr4
	s_delay_alu instid0(VALU_DEP_1)
	v_sub_nc_u32_e32 v22, v0, v1
                                        ; implicit-def: $vgpr0
                                        ; implicit-def: $vgpr1_vgpr2
; %bb.11:
	s_wait_alu 0xfffe
	s_or_saveexec_b32 s1, s1
	s_load_b64 s[2:3], s[2:3], 0x0
	v_cndmask_b32_e64 v3, 0, 0x12d, s0
	s_delay_alu instid0(VALU_DEP_1)
	v_lshlrev_b32_e32 v33, 3, v3
	s_xor_b32 exec_lo, exec_lo, s1
	s_cbranch_execz .LBB0_15
; %bb.12:
	s_add_nc_u64 s[10:11], s[12:13], s[10:11]
	v_lshlrev_b64_e32 v[1:2], 3, v[1:2]
	s_load_b64 s[10:11], s[10:11], 0x0
	s_wait_kmcnt 0x0
	v_mul_lo_u32 v7, s11, v24
	v_mul_lo_u32 v8, s10, v25
	v_mad_co_u64_u32 v[5:6], null, s10, v24, 0
	s_delay_alu instid0(VALU_DEP_1) | instskip(SKIP_1) | instid1(VALU_DEP_2)
	v_add3_u32 v6, v6, v8, v7
	v_mul_u32_u24_e32 v7, 30, v4
	v_lshlrev_b64_e32 v[4:5], 3, v[5:6]
	s_delay_alu instid0(VALU_DEP_2) | instskip(NEXT) | instid1(VALU_DEP_1)
	v_sub_nc_u32_e32 v22, v0, v7
	v_lshlrev_b32_e32 v23, 3, v22
	s_delay_alu instid0(VALU_DEP_3) | instskip(SKIP_1) | instid1(VALU_DEP_4)
	v_add_co_u32 v0, s0, s4, v4
	s_wait_alu 0xf1ff
	v_add_co_ci_u32_e64 v4, s0, s5, v5, s0
	s_mov_b32 s4, exec_lo
	s_delay_alu instid0(VALU_DEP_2) | instskip(SKIP_1) | instid1(VALU_DEP_2)
	v_add_co_u32 v0, s0, v0, v1
	s_wait_alu 0xf1ff
	v_add_co_ci_u32_e64 v1, s0, v4, v2, s0
	v_add3_u32 v2, 0, v33, v23
	s_delay_alu instid0(VALU_DEP_3) | instskip(SKIP_1) | instid1(VALU_DEP_3)
	v_add_co_u32 v4, s0, v0, v23
	s_wait_alu 0xf1ff
	v_add_co_ci_u32_e64 v5, s0, 0, v1, s0
	s_clause 0x9
	global_load_b64 v[6:7], v[4:5], off
	global_load_b64 v[8:9], v[4:5], off offset:240
	global_load_b64 v[10:11], v[4:5], off offset:480
	;; [unrolled: 1-line block ×9, first 2 shown]
	v_add_nc_u32_e32 v23, 0x400, v2
	s_wait_loadcnt 0x8
	ds_store_2addr_b64 v2, v[6:7], v[8:9] offset1:30
	s_wait_loadcnt 0x6
	ds_store_2addr_b64 v2, v[10:11], v[12:13] offset0:60 offset1:90
	s_wait_loadcnt 0x4
	ds_store_2addr_b64 v2, v[14:15], v[16:17] offset0:120 offset1:150
	;; [unrolled: 2-line block ×4, first 2 shown]
	v_cmpx_eq_u32_e32 29, v22
	s_cbranch_execz .LBB0_14
; %bb.13:
	global_load_b64 v[0:1], v[0:1], off offset:2400
	v_mov_b32_e32 v22, 29
	s_wait_loadcnt 0x0
	ds_store_b64 v2, v[0:1] offset:2168
.LBB0_14:
	s_wait_alu 0xfffe
	s_or_b32 exec_lo, exec_lo, s4
.LBB0_15:
	s_delay_alu instid0(SALU_CYCLE_1)
	s_or_b32 exec_lo, exec_lo, s1
	v_lshl_add_u32 v32, v3, 3, 0
	v_lshlrev_b32_e32 v0, 3, v22
	global_wb scope:SCOPE_SE
	s_wait_dscnt 0x0
	s_wait_kmcnt 0x0
	s_barrier_signal -1
	s_barrier_wait -1
	global_inv scope:SCOPE_SE
	v_add_nc_u32_e32 v4, v32, v0
	v_sub_nc_u32_e32 v5, v32, v0
	s_mov_b32 s1, exec_lo
                                        ; implicit-def: $vgpr2_vgpr3
	ds_load_b32 v6, v4
	ds_load_b32 v7, v5 offset:2400
	s_wait_dscnt 0x0
	v_dual_sub_f32 v1, v6, v7 :: v_dual_add_f32 v0, v7, v6
	v_cmpx_ne_u32_e32 0, v22
	s_wait_alu 0xfffe
	s_xor_b32 s1, exec_lo, s1
	s_cbranch_execz .LBB0_17
; %bb.16:
	v_dual_mov_b32 v23, 0 :: v_dual_add_f32 v8, v7, v6
	s_delay_alu instid0(VALU_DEP_1) | instskip(NEXT) | instid1(VALU_DEP_1)
	v_lshlrev_b64_e32 v[0:1], 3, v[22:23]
	v_add_co_u32 v0, s0, s8, v0
	s_wait_alu 0xf1ff
	s_delay_alu instid0(VALU_DEP_2)
	v_add_co_ci_u32_e64 v1, s0, s9, v1, s0
	global_load_b64 v[2:3], v[0:1], off offset:2320
	ds_load_b32 v0, v5 offset:2404
	ds_load_b32 v1, v4 offset:4
	s_wait_dscnt 0x0
	v_dual_sub_f32 v9, v6, v7 :: v_dual_add_f32 v10, v0, v1
	v_sub_f32_e32 v0, v1, v0
	s_wait_loadcnt 0x0
	s_delay_alu instid0(VALU_DEP_2) | instskip(NEXT) | instid1(VALU_DEP_2)
	v_fma_f32 v6, -v9, v3, v8
	v_fma_f32 v7, v10, v3, -v0
	v_fma_f32 v11, v9, v3, v8
	v_fma_f32 v1, v10, v3, v0
	s_delay_alu instid0(VALU_DEP_4) | instskip(NEXT) | instid1(VALU_DEP_4)
	v_fmac_f32_e32 v6, v2, v10
	v_fmac_f32_e32 v7, v9, v2
	s_delay_alu instid0(VALU_DEP_4) | instskip(NEXT) | instid1(VALU_DEP_4)
	v_fma_f32 v0, -v2, v10, v11
	v_dual_fmac_f32 v1, v9, v2 :: v_dual_mov_b32 v2, v22
	v_mov_b32_e32 v3, v23
	ds_store_b64 v5, v[6:7] offset:2400
.LBB0_17:
	s_wait_alu 0xfffe
	s_and_not1_saveexec_b32 s0, s1
	s_cbranch_execz .LBB0_19
; %bb.18:
	ds_load_b64 v[2:3], v32 offset:1200
	s_wait_dscnt 0x0
	v_dual_add_f32 v6, v2, v2 :: v_dual_mul_f32 v7, -2.0, v3
	v_mov_b32_e32 v2, 0
	v_mov_b32_e32 v3, 0
	ds_store_b64 v32, v[6:7] offset:1200
.LBB0_19:
	s_wait_alu 0xfffe
	s_or_b32 exec_lo, exec_lo, s0
	v_lshlrev_b64_e32 v[2:3], 3, v[2:3]
	s_add_nc_u64 s[0:1], s[8:9], 0x910
	v_lshl_add_u32 v19, v22, 3, 0
	s_wait_alu 0xfffe
	s_delay_alu instid0(VALU_DEP_2)
	v_add_co_u32 v2, s0, s0, v2
	s_wait_alu 0xf1ff
	v_add_co_ci_u32_e64 v3, s0, s1, v3, s0
	v_mad_u32_u24 v34, 0x48, v22, v19
	v_cmp_gt_u32_e64 s0, 10, v22
	s_clause 0x3
	global_load_b64 v[6:7], v[2:3], off offset:240
	global_load_b64 v[8:9], v[2:3], off offset:480
	;; [unrolled: 1-line block ×4, first 2 shown]
	ds_store_b64 v4, v[0:1]
	ds_load_b64 v[0:1], v4 offset:240
	ds_load_b64 v[12:13], v5 offset:2160
	v_add_nc_u32_e32 v23, v19, v33
	v_add_nc_u32_e32 v28, v34, v33
	s_wait_dscnt 0x0
	v_dual_add_f32 v14, v0, v12 :: v_dual_add_f32 v15, v13, v1
	v_sub_f32_e32 v16, v0, v12
	v_sub_f32_e32 v0, v1, v13
	s_wait_loadcnt 0x3
	s_delay_alu instid0(VALU_DEP_1) | instskip(NEXT) | instid1(VALU_DEP_3)
	v_fma_f32 v1, v15, v7, v0
	v_fma_f32 v17, v16, v7, v14
	v_fma_f32 v12, -v16, v7, v14
	s_delay_alu instid0(VALU_DEP_3) | instskip(SKIP_1) | instid1(VALU_DEP_4)
	v_fmac_f32_e32 v1, v16, v6
	v_fma_f32 v13, v15, v7, -v0
	v_fma_f32 v0, -v6, v15, v17
	s_delay_alu instid0(VALU_DEP_2)
	v_dual_fmac_f32 v12, v6, v15 :: v_dual_fmac_f32 v13, v16, v6
	ds_store_b64 v4, v[0:1] offset:240
	ds_store_b64 v5, v[12:13] offset:2160
	ds_load_b64 v[0:1], v4 offset:480
	ds_load_b64 v[6:7], v5 offset:1920
	s_wait_dscnt 0x0
	v_dual_add_f32 v13, v7, v1 :: v_dual_sub_f32 v14, v0, v6
	v_add_f32_e32 v12, v0, v6
	v_sub_f32_e32 v0, v1, v7
	s_wait_loadcnt 0x2
	s_delay_alu instid0(VALU_DEP_1) | instskip(NEXT) | instid1(VALU_DEP_1)
	v_fma_f32 v7, v13, v9, -v0
	v_fmac_f32_e32 v7, v14, v8
	v_fma_f32 v1, v13, v9, v0
	s_delay_alu instid0(VALU_DEP_1) | instskip(SKIP_2) | instid1(VALU_DEP_2)
	v_fmac_f32_e32 v1, v14, v8
	v_fma_f32 v15, v14, v9, v12
	v_fma_f32 v6, -v14, v9, v12
	v_fma_f32 v0, -v8, v13, v15
	s_delay_alu instid0(VALU_DEP_2)
	v_fmac_f32_e32 v6, v8, v13
	ds_store_b64 v4, v[0:1] offset:480
	ds_store_b64 v5, v[6:7] offset:1920
	ds_load_b64 v[0:1], v4 offset:720
	ds_load_b64 v[6:7], v5 offset:1680
	s_wait_dscnt 0x0
	v_dual_add_f32 v8, v0, v6 :: v_dual_add_f32 v9, v7, v1
	v_sub_f32_e32 v12, v0, v6
	v_sub_f32_e32 v0, v1, v7
	s_wait_loadcnt 0x1
	s_delay_alu instid0(VALU_DEP_2) | instskip(NEXT) | instid1(VALU_DEP_2)
	v_fma_f32 v13, v12, v11, v8
	v_fma_f32 v1, v9, v11, v0
	v_fma_f32 v6, -v12, v11, v8
	v_and_b32_e32 v8, 0xff, v22
	s_delay_alu instid0(VALU_DEP_3) | instskip(SKIP_4) | instid1(VALU_DEP_4)
	v_fmac_f32_e32 v1, v12, v10
	v_fma_f32 v7, v9, v11, -v0
	v_fma_f32 v0, -v10, v9, v13
	v_fmac_f32_e32 v6, v10, v9
	v_mul_lo_u16 v8, 0xcd, v8
	v_fmac_f32_e32 v7, v12, v10
	ds_store_b64 v4, v[0:1] offset:720
	ds_store_b64 v5, v[6:7] offset:1680
	ds_load_b64 v[0:1], v4 offset:960
	ds_load_b64 v[6:7], v5 offset:1440
	v_lshrrev_b16 v30, 11, v8
	s_wait_dscnt 0x0
	v_dual_add_f32 v9, v0, v6 :: v_dual_add_f32 v10, v7, v1
	v_dual_sub_f32 v11, v0, v6 :: v_dual_sub_f32 v0, v1, v7
	s_wait_loadcnt 0x0
	s_delay_alu instid0(VALU_DEP_1) | instskip(NEXT) | instid1(VALU_DEP_2)
	v_fma_f32 v8, v11, v3, v9
	v_fma_f32 v1, v10, v3, v0
	v_fma_f32 v6, -v11, v3, v9
	v_fma_f32 v7, v10, v3, -v0
	v_mul_lo_u16 v3, v30, 10
	v_fma_f32 v0, -v2, v10, v8
	v_fmac_f32_e32 v1, v11, v2
	v_fmac_f32_e32 v6, v2, v10
	;; [unrolled: 1-line block ×3, first 2 shown]
	v_sub_nc_u16 v26, v22, v3
	ds_store_b64 v4, v[0:1] offset:960
	ds_store_b64 v5, v[6:7] offset:1440
	global_wb scope:SCOPE_SE
	s_wait_dscnt 0x0
	s_barrier_signal -1
	s_barrier_wait -1
	global_inv scope:SCOPE_SE
	global_wb scope:SCOPE_SE
	s_barrier_signal -1
	s_barrier_wait -1
	global_inv scope:SCOPE_SE
	ds_load_2addr_b64 v[0:3], v23 offset0:30 offset1:60
	ds_load_2addr_b64 v[5:8], v23 offset0:90 offset1:120
	ds_load_b64 v[17:18], v4
	ds_load_2addr_b64 v[9:12], v23 offset0:150 offset1:180
	ds_load_2addr_b64 v[13:16], v23 offset0:210 offset1:240
	v_and_b32_e32 v31, 0xff, v26
	ds_load_b64 v[26:27], v23 offset:2160
	global_wb scope:SCOPE_SE
	s_wait_dscnt 0x0
	s_barrier_signal -1
	s_barrier_wait -1
	global_inv scope:SCOPE_SE
	v_dual_sub_f32 v38, v2, v7 :: v_dual_add_f32 v29, v17, v2
	v_add_f32_e32 v35, v7, v11
	v_dual_sub_f32 v39, v15, v11 :: v_dual_add_f32 v44, v8, v12
	v_dual_add_f32 v40, v2, v15 :: v_dual_sub_f32 v41, v7, v2
	v_dual_sub_f32 v42, v11, v15 :: v_dual_sub_f32 v47, v16, v12
	v_dual_add_f32 v43, v18, v3 :: v_dual_sub_f32 v46, v3, v8
	v_dual_sub_f32 v45, v7, v11 :: v_dual_add_f32 v50, v0, v5
	v_dual_add_f32 v48, v3, v16 :: v_dual_add_f32 v51, v9, v13
	v_sub_f32_e32 v52, v6, v27
	v_dual_sub_f32 v55, v26, v13 :: v_dual_add_f32 v56, v5, v26
	v_dual_sub_f32 v57, v9, v5 :: v_dual_add_f32 v60, v10, v14
	v_sub_f32_e32 v36, v3, v16
	v_dual_sub_f32 v37, v8, v12 :: v_dual_sub_f32 v2, v2, v15
	v_sub_f32_e32 v49, v12, v16
	v_sub_f32_e32 v3, v8, v3
	v_dual_sub_f32 v53, v10, v14 :: v_dual_sub_f32 v54, v5, v9
	v_dual_sub_f32 v58, v13, v26 :: v_dual_sub_f32 v65, v14, v27
	v_dual_add_f32 v59, v1, v6 :: v_dual_add_f32 v64, v6, v27
	v_dual_sub_f32 v5, v5, v26 :: v_dual_add_f32 v8, v43, v8
	v_dual_sub_f32 v61, v9, v13 :: v_dual_sub_f32 v62, v6, v10
	v_sub_f32_e32 v63, v27, v14
	v_dual_sub_f32 v6, v10, v6 :: v_dual_add_f32 v7, v29, v7
	v_fma_f32 v29, -0.5, v35, v17
	v_dual_add_f32 v35, v38, v39 :: v_dual_add_f32 v38, v41, v42
	v_fma_f32 v17, -0.5, v40, v17
	v_fma_f32 v39, -0.5, v44, v18
	v_dual_fmac_f32 v18, -0.5, v48 :: v_dual_add_f32 v3, v3, v49
	v_add_f32_e32 v9, v50, v9
	v_fma_f32 v41, -0.5, v51, v0
	v_fma_f32 v43, -0.5, v56, v0
	v_add_f32_e32 v0, v57, v58
	v_fma_f32 v44, -0.5, v60, v1
	v_add_f32_e32 v40, v46, v47
	v_add_f32_e32 v42, v54, v55
	;; [unrolled: 1-line block ×3, first 2 shown]
	v_dual_add_f32 v46, v62, v63 :: v_dual_fmamk_f32 v49, v37, 0xbf737871, v17
	v_fma_f32 v47, -0.5, v64, v1
	v_dual_add_f32 v1, v6, v65 :: v_dual_add_f32 v6, v7, v11
	v_fmac_f32_e32 v17, 0x3f737871, v37
	v_dual_fmamk_f32 v48, v36, 0x3f737871, v29 :: v_dual_fmamk_f32 v51, v45, 0x3f737871, v18
	v_fmac_f32_e32 v29, 0xbf737871, v36
	v_dual_add_f32 v7, v8, v12 :: v_dual_fmamk_f32 v50, v2, 0xbf737871, v39
	v_dual_fmac_f32 v39, 0x3f737871, v2 :: v_dual_add_f32 v8, v9, v13
	v_fmac_f32_e32 v18, 0xbf737871, v45
	v_dual_fmamk_f32 v9, v52, 0x3f737871, v41 :: v_dual_add_f32 v10, v10, v14
	v_dual_fmamk_f32 v11, v53, 0xbf737871, v43 :: v_dual_add_f32 v6, v6, v15
	v_fmac_f32_e32 v43, 0x3f737871, v53
	v_fmamk_f32 v12, v5, 0xbf737871, v44
	v_dual_fmac_f32 v44, 0x3f737871, v5 :: v_dual_fmamk_f32 v13, v61, 0x3f737871, v47
	v_fmac_f32_e32 v41, 0xbf737871, v52
	v_fmac_f32_e32 v47, 0xbf737871, v61
	;; [unrolled: 1-line block ×3, first 2 shown]
	v_dual_fmac_f32 v17, 0xbf167918, v36 :: v_dual_fmac_f32 v50, 0xbf167918, v45
	v_dual_add_f32 v7, v7, v16 :: v_dual_fmac_f32 v18, 0x3f167918, v2
	v_dual_fmac_f32 v51, 0xbf167918, v2 :: v_dual_fmac_f32 v12, 0xbf167918, v61
	v_dual_add_f32 v2, v8, v26 :: v_dual_fmac_f32 v9, 0x3f167918, v53
	v_dual_fmac_f32 v11, 0x3f167918, v52 :: v_dual_fmac_f32 v44, 0x3f167918, v61
	v_fmac_f32_e32 v43, 0xbf167918, v52
	v_dual_fmac_f32 v39, 0x3f167918, v45 :: v_dual_add_f32 v8, v10, v27
	v_dual_fmac_f32 v29, 0x3e9e377a, v35 :: v_dual_fmac_f32 v50, 0x3e9e377a, v40
	v_dual_fmac_f32 v17, 0x3e9e377a, v38 :: v_dual_fmac_f32 v18, 0x3e9e377a, v3
	v_dual_fmac_f32 v51, 0x3e9e377a, v3 :: v_dual_fmac_f32 v44, 0x3e9e377a, v46
	v_fmac_f32_e32 v11, 0x3e9e377a, v0
	v_dual_fmac_f32 v43, 0x3e9e377a, v0 :: v_dual_add_f32 v0, v6, v2
	v_sub_f32_e32 v2, v6, v2
	v_fmac_f32_e32 v9, 0x3e9e377a, v42
	v_dual_fmac_f32 v39, 0x3e9e377a, v40 :: v_dual_fmac_f32 v12, 0x3e9e377a, v46
	v_sub_f32_e32 v3, v7, v8
	v_fmac_f32_e32 v13, 0xbf167918, v5
	s_delay_alu instid0(VALU_DEP_4) | instskip(SKIP_2) | instid1(VALU_DEP_4)
	v_mul_f32_e32 v14, 0x3f4f1bbd, v9
	v_fmac_f32_e32 v47, 0x3f167918, v5
	v_dual_fmac_f32 v48, 0x3f167918, v37 :: v_dual_fmac_f32 v49, 0x3f167918, v36
	v_fmac_f32_e32 v13, 0x3e9e377a, v1
	s_delay_alu instid0(VALU_DEP_4) | instskip(NEXT) | instid1(VALU_DEP_4)
	v_fmac_f32_e32 v14, 0x3f167918, v12
	v_fmac_f32_e32 v47, 0x3e9e377a, v1
	s_delay_alu instid0(VALU_DEP_4) | instskip(SKIP_2) | instid1(VALU_DEP_4)
	v_dual_add_f32 v1, v7, v8 :: v_dual_fmac_f32 v48, 0x3e9e377a, v35
	v_fmac_f32_e32 v49, 0x3e9e377a, v38
	v_mul_f32_e32 v5, 0x3e9e377a, v43
	v_mul_f32_e32 v7, 0x3e9e377a, v47
	;; [unrolled: 1-line block ×4, first 2 shown]
	v_mul_u32_u24_e32 v19, 9, v31
	s_delay_alu instid0(VALU_DEP_4) | instskip(NEXT) | instid1(VALU_DEP_1)
	v_fma_f32 v36, 0xbf737871, v43, -v7
	v_dual_add_f32 v10, v18, v36 :: v_dual_lshlrev_b32 v19, 3, v19
	v_mul_f32_e32 v16, 0xbf167918, v9
	v_sub_f32_e32 v18, v18, v36
	v_fma_f32 v26, 0x3f737871, v47, -v5
	s_delay_alu instid0(VALU_DEP_3) | instskip(SKIP_1) | instid1(VALU_DEP_3)
	v_dual_add_f32 v5, v48, v14 :: v_dual_fmac_f32 v16, 0x3f4f1bbd, v12
	v_fmac_f32_e32 v41, 0xbf167918, v53
	v_add_f32_e32 v9, v17, v26
	v_sub_f32_e32 v17, v17, v26
	s_delay_alu instid0(VALU_DEP_3) | instskip(NEXT) | instid1(VALU_DEP_1)
	v_fmac_f32_e32 v41, 0x3e9e377a, v42
	v_fma_f32 v37, 0xbf167918, v41, -v8
	s_delay_alu instid0(VALU_DEP_1) | instskip(SKIP_1) | instid1(VALU_DEP_1)
	v_add_f32_e32 v12, v39, v37
	v_mul_f32_e32 v6, 0x3f4f1bbd, v41
	v_fma_f32 v35, 0x3f167918, v44, -v6
	s_delay_alu instid0(VALU_DEP_1) | instskip(SKIP_3) | instid1(VALU_DEP_3)
	v_sub_f32_e32 v26, v29, v35
	v_mul_f32_e32 v27, 0xbf737871, v11
	v_fmac_f32_e32 v15, 0x3e9e377a, v11
	v_add_f32_e32 v11, v29, v35
	v_fmac_f32_e32 v27, 0x3e9e377a, v13
	s_delay_alu instid0(VALU_DEP_3) | instskip(SKIP_2) | instid1(VALU_DEP_4)
	v_dual_add_f32 v7, v49, v15 :: v_dual_add_f32 v6, v50, v16
	v_sub_f32_e32 v13, v48, v14
	v_sub_f32_e32 v15, v49, v15
	v_add_f32_e32 v8, v51, v27
	v_sub_f32_e32 v14, v50, v16
	v_sub_f32_e32 v16, v51, v27
	;; [unrolled: 1-line block ×3, first 2 shown]
	ds_store_2addr_b64 v28, v[0:1], v[5:6] offset1:1
	ds_store_2addr_b64 v28, v[7:8], v[9:10] offset0:2 offset1:3
	ds_store_2addr_b64 v28, v[11:12], v[2:3] offset0:4 offset1:5
	;; [unrolled: 1-line block ×4, first 2 shown]
	global_wb scope:SCOPE_SE
	s_wait_dscnt 0x0
	s_barrier_signal -1
	s_barrier_wait -1
	global_inv scope:SCOPE_SE
	s_clause 0x4
	global_load_b128 v[0:3], v19, s[8:9]
	global_load_b128 v[5:8], v19, s[8:9] offset:16
	global_load_b128 v[9:12], v19, s[8:9] offset:32
	;; [unrolled: 1-line block ×3, first 2 shown]
	global_load_b64 v[17:18], v19, s[8:9] offset:64
	ds_load_2addr_b64 v[35:38], v23 offset0:90 offset1:120
	ds_load_2addr_b64 v[26:29], v23 offset0:30 offset1:60
	;; [unrolled: 1-line block ×4, first 2 shown]
	s_wait_loadcnt_dscnt 0x402
	v_mul_f32_e32 v50, v1, v27
	s_wait_loadcnt 0x3
	v_mul_f32_e32 v52, v6, v36
	v_dual_mul_f32 v6, v6, v35 :: v_dual_and_b32 v19, 0xffff, v30
	v_lshlrev_b32_e32 v30, 3, v31
	s_wait_loadcnt_dscnt 0x201
	v_mul_f32_e32 v54, v10, v40
	v_mul_f32_e32 v10, v10, v39
	v_fmac_f32_e32 v6, v5, v36
	v_mad_u32_u24 v19, 0x320, v19, 0
	s_wait_loadcnt_dscnt 0x100
	v_dual_mul_f32 v51, v3, v29 :: v_dual_mul_f32 v56, v44, v14
	v_fmac_f32_e32 v10, v9, v40
	v_mul_f32_e32 v14, v43, v14
	v_add3_u32 v19, v19, v30, v33
	ds_load_b64 v[30:31], v4
	ds_load_b64 v[47:48], v23 offset:2160
	v_mul_f32_e32 v1, v1, v26
	v_mul_f32_e32 v57, v46, v16
	;; [unrolled: 1-line block ×6, first 2 shown]
	v_fma_f32 v26, v0, v26, -v50
	v_fmac_f32_e32 v14, v44, v13
	v_fmac_f32_e32 v1, v0, v27
	v_fma_f32 v0, v2, v28, -v51
	v_fmac_f32_e32 v16, v46, v15
	v_fmac_f32_e32 v3, v2, v29
	v_mul_f32_e32 v53, v8, v38
	v_dual_mul_f32 v8, v8, v37 :: v_dual_add_nc_u32 v49, 0x400, v23
	v_fma_f32 v2, v5, v35, -v52
	v_fmac_f32_e32 v12, v42, v11
	v_sub_f32_e32 v28, v3, v16
	v_fma_f32 v5, v7, v37, -v53
	s_wait_loadcnt_dscnt 0x0
	v_mul_f32_e32 v58, v48, v18
	v_mul_f32_e32 v18, v47, v18
	v_fmac_f32_e32 v8, v7, v38
	v_fma_f32 v7, v9, v39, -v54
	v_fma_f32 v9, v41, v11, -v55
	;; [unrolled: 1-line block ×5, first 2 shown]
	v_dual_fmac_f32 v18, v48, v17 :: v_dual_add_f32 v17, v30, v0
	s_delay_alu instid0(VALU_DEP_4) | instskip(NEXT) | instid1(VALU_DEP_4)
	v_dual_sub_f32 v35, v0, v5 :: v_dual_add_f32 v48, v7, v11
	v_sub_f32_e32 v36, v13, v9
	s_delay_alu instid0(VALU_DEP_3)
	v_dual_add_f32 v37, v0, v13 :: v_dual_sub_f32 v50, v6, v18
	v_sub_f32_e32 v38, v5, v0
	v_dual_add_f32 v27, v5, v9 :: v_dual_add_f32 v40, v31, v3
	v_dual_add_f32 v41, v8, v12 :: v_dual_sub_f32 v52, v2, v7
	v_dual_sub_f32 v29, v8, v12 :: v_dual_sub_f32 v42, v5, v9
	v_dual_sub_f32 v39, v9, v13 :: v_dual_sub_f32 v44, v16, v12
	;; [unrolled: 1-line block ×3, first 2 shown]
	v_dual_add_f32 v45, v3, v16 :: v_dual_add_f32 v54, v2, v15
	v_dual_sub_f32 v3, v8, v3 :: v_dual_add_f32 v58, v10, v14
	v_dual_sub_f32 v46, v12, v16 :: v_dual_add_f32 v47, v26, v2
	v_dual_sub_f32 v53, v15, v11 :: v_dual_sub_f32 v60, v6, v10
	v_dual_add_f32 v57, v1, v6 :: v_dual_add_f32 v8, v40, v8
	v_dual_sub_f32 v59, v7, v11 :: v_dual_add_f32 v62, v6, v18
	v_dual_sub_f32 v6, v10, v6 :: v_dual_add_f32 v5, v17, v5
	v_fma_f32 v27, -0.5, v27, v30
	v_add_f32_e32 v17, v35, v36
	v_fma_f32 v30, -0.5, v37, v30
	v_fma_f32 v36, -0.5, v41, v31
	v_dual_sub_f32 v51, v10, v14 :: v_dual_sub_f32 v56, v11, v15
	v_dual_sub_f32 v55, v7, v2 :: v_dual_sub_f32 v2, v2, v15
	v_dual_add_f32 v35, v38, v39 :: v_dual_add_f32 v10, v57, v10
	v_dual_fmac_f32 v31, -0.5, v45 :: v_dual_add_f32 v8, v8, v12
	v_add_f32_e32 v3, v3, v46
	v_dual_add_f32 v7, v47, v7 :: v_dual_fmamk_f32 v46, v0, 0xbf737871, v36
	v_dual_add_f32 v39, v52, v53 :: v_dual_fmac_f32 v36, 0x3f737871, v0
	v_fma_f32 v41, -0.5, v58, v1
	v_dual_add_f32 v5, v5, v9 :: v_dual_add_f32 v10, v10, v14
	v_fmamk_f32 v45, v29, 0xbf737871, v30
	v_fmac_f32_e32 v30, 0x3f737871, v29
	s_delay_alu instid0(VALU_DEP_4)
	v_fmamk_f32 v12, v2, 0xbf737871, v41
	v_dual_sub_f32 v61, v18, v14 :: v_dual_add_f32 v40, v55, v56
	v_sub_f32_e32 v63, v14, v18
	v_add_f32_e32 v37, v43, v44
	v_fma_f32 v38, -0.5, v48, v26
	v_fmac_f32_e32 v26, -0.5, v54
	v_fmamk_f32 v44, v28, 0x3f737871, v27
	v_add_f32_e32 v6, v6, v63
	v_dual_fmamk_f32 v47, v42, 0x3f737871, v31 :: v_dual_add_f32 v8, v8, v16
	s_delay_alu instid0(VALU_DEP_3)
	v_dual_add_f32 v7, v7, v11 :: v_dual_fmac_f32 v44, 0x3f167918, v29
	v_dual_add_f32 v5, v5, v13 :: v_dual_fmac_f32 v30, 0xbf167918, v28
	v_fmac_f32_e32 v31, 0xbf737871, v42
	v_dual_fmac_f32 v45, 0x3f167918, v28 :: v_dual_fmac_f32 v36, 0x3f167918, v42
	v_add_f32_e32 v43, v60, v61
	v_fmac_f32_e32 v1, -0.5, v62
	v_fmac_f32_e32 v27, 0xbf737871, v28
	v_dual_fmac_f32 v47, 0xbf167918, v0 :: v_dual_fmac_f32 v12, 0xbf167918, v59
	v_fmac_f32_e32 v36, 0x3e9e377a, v37
	v_dual_fmac_f32 v31, 0x3f167918, v0 :: v_dual_add_f32 v0, v7, v15
	v_add_f32_e32 v7, v10, v18
	v_fmamk_f32 v11, v51, 0xbf737871, v26
	v_fmac_f32_e32 v26, 0x3f737871, v51
	v_dual_fmamk_f32 v9, v50, 0x3f737871, v38 :: v_dual_fmamk_f32 v14, v59, 0x3f737871, v1
	v_fmac_f32_e32 v38, 0xbf737871, v50
	v_fmac_f32_e32 v12, 0x3e9e377a, v43
	s_delay_alu instid0(VALU_DEP_4) | instskip(NEXT) | instid1(VALU_DEP_4)
	v_fmac_f32_e32 v26, 0xbf167918, v50
	v_fmac_f32_e32 v9, 0x3f167918, v51
	v_dual_fmac_f32 v27, 0xbf167918, v29 :: v_dual_fmac_f32 v46, 0xbf167918, v42
	v_dual_fmac_f32 v44, 0x3e9e377a, v17 :: v_dual_fmac_f32 v45, 0x3e9e377a, v35
	s_delay_alu instid0(VALU_DEP_3) | instskip(SKIP_1) | instid1(VALU_DEP_4)
	v_dual_fmac_f32 v9, 0x3e9e377a, v39 :: v_dual_fmac_f32 v26, 0x3e9e377a, v40
	v_fmac_f32_e32 v38, 0xbf167918, v51
	v_dual_fmac_f32 v46, 0x3e9e377a, v37 :: v_dual_fmac_f32 v47, 0x3e9e377a, v3
	s_delay_alu instid0(VALU_DEP_3)
	v_mul_f32_e32 v18, 0xbf167918, v9
	v_dual_fmac_f32 v27, 0x3e9e377a, v17 :: v_dual_fmac_f32 v30, 0x3e9e377a, v35
	v_fmac_f32_e32 v14, 0xbf167918, v2
	global_wb scope:SCOPE_SE
	v_fmac_f32_e32 v18, 0x3f4f1bbd, v12
	v_fmac_f32_e32 v1, 0xbf737871, v59
	s_barrier_signal -1
	v_fmac_f32_e32 v14, 0x3e9e377a, v6
	s_barrier_wait -1
	global_inv scope:SCOPE_SE
	v_fmac_f32_e32 v1, 0x3f167918, v2
	v_mul_f32_e32 v16, 0x3f737871, v14
	s_delay_alu instid0(VALU_DEP_2) | instskip(NEXT) | instid1(VALU_DEP_1)
	v_dual_fmac_f32 v1, 0x3e9e377a, v6 :: v_dual_sub_f32 v6, v8, v7
	v_mul_f32_e32 v10, 0x3e9e377a, v1
	s_delay_alu instid0(VALU_DEP_1) | instskip(SKIP_1) | instid1(VALU_DEP_1)
	v_fma_f32 v35, 0xbf737871, v26, -v10
	v_fmac_f32_e32 v11, 0x3f167918, v50
	v_dual_fmac_f32 v38, 0x3e9e377a, v39 :: v_dual_fmac_f32 v11, 0x3e9e377a, v40
	s_delay_alu instid0(VALU_DEP_1) | instskip(SKIP_1) | instid1(VALU_DEP_2)
	v_mul_f32_e32 v28, 0xbf737871, v11
	v_fmac_f32_e32 v16, 0x3e9e377a, v11
	v_fmac_f32_e32 v28, 0x3e9e377a, v14
	v_dual_fmac_f32 v41, 0x3f737871, v2 :: v_dual_add_f32 v2, v5, v0
	v_sub_f32_e32 v5, v5, v0
	v_mul_f32_e32 v0, 0x3f167918, v12
	s_delay_alu instid0(VALU_DEP_3) | instskip(NEXT) | instid1(VALU_DEP_2)
	v_dual_add_f32 v10, v47, v28 :: v_dual_fmac_f32 v41, 0x3f167918, v59
	v_dual_sub_f32 v17, v45, v16 :: v_dual_fmac_f32 v0, 0x3f4f1bbd, v9
	v_add_f32_e32 v9, v45, v16
	s_delay_alu instid0(VALU_DEP_3) | instskip(NEXT) | instid1(VALU_DEP_3)
	v_dual_fmac_f32 v41, 0x3e9e377a, v43 :: v_dual_sub_f32 v16, v46, v18
	v_sub_f32_e32 v15, v44, v0
	s_delay_alu instid0(VALU_DEP_2) | instskip(NEXT) | instid1(VALU_DEP_1)
	v_mul_f32_e32 v13, 0x3f4f1bbd, v41
	v_fma_f32 v37, 0xbf167918, v38, -v13
	s_delay_alu instid0(VALU_DEP_1) | instskip(SKIP_3) | instid1(VALU_DEP_4)
	v_dual_add_f32 v14, v36, v37 :: v_dual_fmac_f32 v31, 0x3e9e377a, v3
	v_add_f32_e32 v3, v8, v7
	v_mul_f32_e32 v7, 0x3e9e377a, v26
	v_mul_f32_e32 v8, 0x3f4f1bbd, v38
	v_add_f32_e32 v12, v31, v35
	s_delay_alu instid0(VALU_DEP_2)
	v_fma_f32 v29, 0x3f167918, v41, -v8
	v_add_f32_e32 v8, v46, v18
	v_sub_f32_e32 v18, v47, v28
	v_fma_f32 v1, 0x3f737871, v1, -v7
	v_add_f32_e32 v7, v44, v0
	v_add_f32_e32 v13, v27, v29
	v_sub_f32_e32 v0, v27, v29
	v_sub_f32_e32 v27, v31, v35
	v_add_f32_e32 v11, v30, v1
	v_sub_f32_e32 v26, v30, v1
	v_sub_f32_e32 v1, v36, v37
	ds_store_2addr_b64 v19, v[2:3], v[7:8] offset1:10
	ds_store_2addr_b64 v19, v[9:10], v[11:12] offset0:20 offset1:30
	ds_store_2addr_b64 v19, v[13:14], v[5:6] offset0:40 offset1:50
	ds_store_2addr_b64 v19, v[15:16], v[17:18] offset0:60 offset1:70
	ds_store_2addr_b64 v19, v[26:27], v[0:1] offset0:80 offset1:90
	global_wb scope:SCOPE_SE
	s_wait_dscnt 0x0
	s_barrier_signal -1
	s_barrier_wait -1
	global_inv scope:SCOPE_SE
	ds_load_b64 v[28:29], v4
	ds_load_2addr_b64 v[16:19], v23 offset0:100 offset1:130
	ds_load_2addr_b64 v[8:11], v23 offset0:160 offset1:200
	;; [unrolled: 1-line block ×4, first 2 shown]
	v_mul_i32_i24_e32 v35, 0xffffffb8, v22
                                        ; implicit-def: $vgpr27
	s_and_saveexec_b32 s1, s0
	s_cbranch_execz .LBB0_21
; %bb.20:
	ds_load_2addr_b64 v[0:3], v23 offset0:90 offset1:190
	ds_load_b64 v[26:27], v23 offset:2320
.LBB0_21:
	s_wait_alu 0xfffe
	s_or_b32 exec_lo, exec_lo, s1
	v_dual_mov_b32 v31, 0 :: v_dual_lshlrev_b32 v30, 1, v22
	s_delay_alu instid0(VALU_DEP_1) | instskip(SKIP_1) | instid1(VALU_DEP_2)
	v_dual_mov_b32 v39, v31 :: v_dual_add_nc_u32 v38, 60, v30
	v_lshlrev_b64_e32 v[36:37], 3, v[30:31]
	v_lshlrev_b64_e32 v[40:41], 3, v[38:39]
	s_delay_alu instid0(VALU_DEP_2) | instskip(SKIP_1) | instid1(VALU_DEP_3)
	v_add_co_u32 v36, s1, s8, v36
	s_wait_alu 0xf1ff
	v_add_co_ci_u32_e64 v37, s1, s9, v37, s1
	s_delay_alu instid0(VALU_DEP_3) | instskip(SKIP_4) | instid1(VALU_DEP_1)
	v_add_co_u32 v40, s1, s8, v40
	s_wait_alu 0xf1ff
	v_add_co_ci_u32_e64 v41, s1, s9, v41, s1
	global_load_b128 v[36:39], v[36:37], off offset:720
	v_add_nc_u32_e32 v30, 0x78, v30
	v_lshlrev_b64_e32 v[42:43], 3, v[30:31]
	v_add3_u32 v30, v34, v35, v33
	s_delay_alu instid0(VALU_DEP_2) | instskip(SKIP_1) | instid1(VALU_DEP_3)
	v_add_co_u32 v44, s1, s8, v42
	s_wait_alu 0xf1ff
	v_add_co_ci_u32_e64 v45, s1, s9, v43, s1
	s_clause 0x1
	global_load_b128 v[40:43], v[40:41], off offset:720
	global_load_b128 v[44:47], v[44:45], off offset:720
	v_add_nc_u32_e32 v33, 0x400, v30
	v_add_nc_u32_e32 v30, 0x800, v30
	global_wb scope:SCOPE_SE
	s_wait_loadcnt_dscnt 0x0
	s_barrier_signal -1
	s_barrier_wait -1
	global_inv scope:SCOPE_SE
	v_mul_f32_e32 v34, v37, v17
	v_mul_f32_e32 v35, v37, v16
	;; [unrolled: 1-line block ×4, first 2 shown]
	s_delay_alu instid0(VALU_DEP_4) | instskip(NEXT) | instid1(VALU_DEP_4)
	v_fma_f32 v16, v36, v16, -v34
	v_fmac_f32_e32 v35, v36, v17
	s_delay_alu instid0(VALU_DEP_4) | instskip(NEXT) | instid1(VALU_DEP_4)
	v_fma_f32 v10, v38, v10, -v37
	v_dual_fmac_f32 v39, v38, v11 :: v_dual_mul_f32 v34, v43, v13
	v_dual_mul_f32 v36, v43, v12 :: v_dual_mul_f32 v11, v41, v19
	v_mul_f32_e32 v37, v45, v9
	v_mul_f32_e32 v38, v45, v8
	;; [unrolled: 1-line block ×4, first 2 shown]
	v_dual_mul_f32 v43, v47, v14 :: v_dual_fmac_f32 v36, v42, v13
	v_fma_f32 v11, v40, v18, -v11
	v_add_f32_e32 v18, v29, v35
	v_fma_f32 v13, v44, v8, -v37
	v_fmac_f32_e32 v38, v44, v9
	v_add_f32_e32 v8, v28, v16
	v_add_f32_e32 v9, v16, v10
	v_sub_f32_e32 v16, v16, v10
	v_fma_f32 v14, v46, v14, -v41
	v_fmac_f32_e32 v17, v40, v19
	v_fma_f32 v12, v42, v12, -v34
	v_dual_fmac_f32 v43, v46, v15 :: v_dual_add_f32 v8, v8, v10
	s_delay_alu instid0(VALU_DEP_4) | instskip(NEXT) | instid1(VALU_DEP_4)
	v_add_f32_e32 v40, v13, v14
	v_sub_f32_e32 v34, v17, v36
	v_fma_f32 v28, -0.5, v9, v28
	v_dual_add_f32 v9, v18, v39 :: v_dual_add_f32 v42, v7, v38
	v_add_f32_e32 v18, v4, v11
	v_add_f32_e32 v19, v35, v39
	v_dual_sub_f32 v15, v35, v39 :: v_dual_sub_f32 v44, v13, v14
	v_add_f32_e32 v35, v5, v17
	v_add_f32_e32 v17, v17, v36
	s_delay_alu instid0(VALU_DEP_3) | instskip(SKIP_4) | instid1(VALU_DEP_4)
	v_dual_fmac_f32 v29, -0.5, v19 :: v_dual_fmamk_f32 v10, v15, 0x3f5db3d7, v28
	v_add_f32_e32 v19, v11, v12
	v_sub_f32_e32 v41, v38, v43
	v_dual_add_f32 v39, v6, v13 :: v_dual_fmac_f32 v28, 0xbf5db3d7, v15
	v_fma_f32 v6, -0.5, v40, v6
	v_fma_f32 v15, -0.5, v19, v4
	v_dual_add_f32 v38, v38, v43 :: v_dual_sub_f32 v37, v11, v12
	v_add_f32_e32 v12, v18, v12
	s_delay_alu instid0(VALU_DEP_4)
	v_fmamk_f32 v18, v41, 0x3f5db3d7, v6
	v_add_f32_e32 v4, v39, v14
	v_fmamk_f32 v14, v34, 0x3f5db3d7, v15
	v_dual_fmamk_f32 v11, v16, 0xbf5db3d7, v29 :: v_dual_fmac_f32 v6, 0xbf5db3d7, v41
	v_fmac_f32_e32 v29, 0x3f5db3d7, v16
	v_fma_f32 v16, -0.5, v17, v5
	v_fmac_f32_e32 v7, -0.5, v38
	v_add_f32_e32 v13, v35, v36
	v_fmac_f32_e32 v15, 0xbf5db3d7, v34
	v_add_f32_e32 v5, v42, v43
	v_fmamk_f32 v17, v37, 0xbf5db3d7, v16
	v_fmac_f32_e32 v16, 0x3f5db3d7, v37
	v_fmamk_f32 v19, v44, 0xbf5db3d7, v7
	v_fmac_f32_e32 v7, 0x3f5db3d7, v44
	ds_store_2addr_b64 v23, v[10:11], v[28:29] offset0:100 offset1:200
	ds_store_2addr_b64 v23, v[8:9], v[12:13] offset1:30
	ds_store_2addr_b32 v33, v14, v17 offset0:4 offset1:5
	ds_store_2addr_b32 v33, v15, v16 offset0:204 offset1:205
	ds_store_b64 v23, v[4:5] offset:480
	ds_store_2addr_b32 v33, v18, v19 offset0:64 offset1:65
	ds_store_2addr_b32 v30, v6, v7 offset0:8 offset1:9
	s_and_saveexec_b32 s1, s0
	s_cbranch_execz .LBB0_23
; %bb.22:
	v_cndmask_b32_e64 v4, -10, 0x5a, s0
	s_delay_alu instid0(VALU_DEP_1) | instskip(NEXT) | instid1(VALU_DEP_1)
	v_add_lshl_u32 v30, v22, v4, 1
	v_lshlrev_b64_e32 v[4:5], 3, v[30:31]
	s_delay_alu instid0(VALU_DEP_1) | instskip(SKIP_1) | instid1(VALU_DEP_2)
	v_add_co_u32 v4, s0, s8, v4
	s_wait_alu 0xf1ff
	v_add_co_ci_u32_e64 v5, s0, s9, v5, s0
	global_load_b128 v[4:7], v[4:5], off offset:720
	s_wait_loadcnt 0x0
	v_dual_mul_f32 v8, v3, v5 :: v_dual_mul_f32 v9, v26, v7
	v_mul_f32_e32 v5, v2, v5
	s_delay_alu instid0(VALU_DEP_2) | instskip(SKIP_1) | instid1(VALU_DEP_3)
	v_fma_f32 v2, v2, v4, -v8
	v_mul_f32_e32 v7, v27, v7
	v_fmac_f32_e32 v5, v3, v4
	v_fmac_f32_e32 v9, v27, v6
	s_delay_alu instid0(VALU_DEP_3) | instskip(NEXT) | instid1(VALU_DEP_1)
	v_fma_f32 v4, v26, v6, -v7
	v_dual_sub_f32 v10, v5, v9 :: v_dual_add_f32 v7, v2, v4
	v_sub_f32_e32 v6, v2, v4
	v_add_f32_e32 v2, v0, v2
	s_delay_alu instid0(VALU_DEP_3) | instskip(NEXT) | instid1(VALU_DEP_2)
	v_fma_f32 v0, -0.5, v7, v0
	v_add_f32_e32 v2, v2, v4
	s_delay_alu instid0(VALU_DEP_2) | instskip(SKIP_2) | instid1(VALU_DEP_1)
	v_fmamk_f32 v4, v10, 0xbf5db3d7, v0
	v_add_f32_e32 v8, v1, v5
	v_dual_add_f32 v3, v5, v9 :: v_dual_fmac_f32 v0, 0x3f5db3d7, v10
	v_fma_f32 v1, -0.5, v3, v1
	s_delay_alu instid0(VALU_DEP_3) | instskip(NEXT) | instid1(VALU_DEP_2)
	v_add_f32_e32 v3, v8, v9
	v_fmamk_f32 v5, v6, 0x3f5db3d7, v1
	v_fmac_f32_e32 v1, 0xbf5db3d7, v6
	ds_store_2addr_b64 v23, v[2:3], v[0:1] offset0:90 offset1:190
	ds_store_b64 v23, v[4:5] offset:2320
.LBB0_23:
	s_wait_alu 0xfffe
	s_or_b32 exec_lo, exec_lo, s1
	global_wb scope:SCOPE_SE
	s_wait_dscnt 0x0
	s_barrier_signal -1
	s_barrier_wait -1
	global_inv scope:SCOPE_SE
	s_and_saveexec_b32 s0, vcc_lo
	s_cbranch_execz .LBB0_25
; %bb.24:
	v_mul_lo_u32 v0, s3, v24
	v_mul_lo_u32 v1, s2, v25
	v_mad_co_u64_u32 v[4:5], null, s2, v24, 0
	v_dual_mov_b32 v23, 0 :: v_dual_add_nc_u32 v10, 30, v22
	v_lshl_add_u32 v24, v22, 3, v32
	v_lshlrev_b64_e32 v[8:9], 3, v[20:21]
	s_delay_alu instid0(VALU_DEP_3)
	v_dual_mov_b32 v11, v23 :: v_dual_add_nc_u32 v12, 60, v22
	v_add3_u32 v5, v5, v1, v0
	ds_load_2addr_b64 v[0:3], v24 offset1:30
	v_lshlrev_b64_e32 v[16:17], 3, v[22:23]
	v_mov_b32_e32 v13, v23
	v_lshlrev_b64_e32 v[10:11], 3, v[10:11]
	v_lshlrev_b64_e32 v[14:15], 3, v[4:5]
	ds_load_2addr_b64 v[4:7], v24 offset0:60 offset1:90
	v_dual_mov_b32 v19, v23 :: v_dual_add_nc_u32 v18, 0xf0, v22
	v_add_co_u32 v14, vcc_lo, s6, v14
	s_wait_alu 0xfffd
	v_add_co_ci_u32_e32 v15, vcc_lo, s7, v15, vcc_lo
	s_delay_alu instid0(VALU_DEP_2) | instskip(SKIP_1) | instid1(VALU_DEP_2)
	v_add_co_u32 v25, vcc_lo, v14, v8
	s_wait_alu 0xfffd
	v_add_co_ci_u32_e32 v26, vcc_lo, v15, v9, vcc_lo
	v_dual_mov_b32 v15, v23 :: v_dual_add_nc_u32 v14, 0x5a, v22
	v_lshlrev_b64_e32 v[8:9], 3, v[12:13]
	v_add_co_u32 v12, vcc_lo, v25, v16
	v_add_nc_u32_e32 v16, 0x78, v22
	s_wait_alu 0xfffd
	v_add_co_ci_u32_e32 v13, vcc_lo, v26, v17, vcc_lo
	v_add_co_u32 v10, vcc_lo, v25, v10
	v_lshlrev_b64_e32 v[14:15], 3, v[14:15]
	s_wait_alu 0xfffd
	v_add_co_ci_u32_e32 v11, vcc_lo, v26, v11, vcc_lo
	v_add_co_u32 v8, vcc_lo, v25, v8
	s_wait_alu 0xfffd
	v_add_co_ci_u32_e32 v9, vcc_lo, v26, v9, vcc_lo
	v_add_co_u32 v14, vcc_lo, v25, v14
	v_mov_b32_e32 v17, v23
	s_wait_alu 0xfffd
	v_add_co_ci_u32_e32 v15, vcc_lo, v26, v15, vcc_lo
	s_wait_dscnt 0x1
	s_clause 0x1
	global_store_b64 v[12:13], v[0:1], off
	global_store_b64 v[10:11], v[2:3], off
	s_wait_dscnt 0x0
	s_clause 0x1
	global_store_b64 v[8:9], v[4:5], off
	global_store_b64 v[14:15], v[6:7], off
	v_dual_mov_b32 v5, v23 :: v_dual_add_nc_u32 v4, 0x96, v22
	v_add_nc_u32_e32 v8, 0xb4, v22
	v_lshlrev_b64_e32 v[16:17], 3, v[16:17]
	v_dual_mov_b32 v9, v23 :: v_dual_add_nc_u32 v10, 0xd2, v22
	s_delay_alu instid0(VALU_DEP_4)
	v_lshlrev_b64_e32 v[4:5], 3, v[4:5]
	v_mov_b32_e32 v11, v23
	ds_load_2addr_b64 v[0:3], v24 offset0:120 offset1:150
	v_add_co_u32 v12, vcc_lo, v25, v16
	v_lshlrev_b64_e32 v[8:9], 3, v[8:9]
	s_wait_alu 0xfffd
	v_add_co_ci_u32_e32 v13, vcc_lo, v26, v17, vcc_lo
	v_add_co_u32 v14, vcc_lo, v25, v4
	v_lshlrev_b64_e32 v[16:17], 3, v[10:11]
	v_add_nc_u32_e32 v10, 0x400, v24
	s_wait_alu 0xfffd
	v_add_co_ci_u32_e32 v15, vcc_lo, v26, v5, vcc_lo
	ds_load_2addr_b64 v[4:7], v24 offset0:180 offset1:210
	v_add_co_u32 v20, vcc_lo, v25, v8
	s_wait_alu 0xfffd
	v_add_co_ci_u32_e32 v21, vcc_lo, v26, v9, vcc_lo
	ds_load_2addr_b64 v[8:11], v10 offset0:112 offset1:142
	v_add_nc_u32_e32 v22, 0x10e, v22
	v_lshlrev_b64_e32 v[18:19], 3, v[18:19]
	v_add_co_u32 v16, vcc_lo, v25, v16
	s_wait_alu 0xfffd
	v_add_co_ci_u32_e32 v17, vcc_lo, v26, v17, vcc_lo
	v_lshlrev_b64_e32 v[22:23], 3, v[22:23]
	s_delay_alu instid0(VALU_DEP_4) | instskip(SKIP_2) | instid1(VALU_DEP_3)
	v_add_co_u32 v18, vcc_lo, v25, v18
	s_wait_alu 0xfffd
	v_add_co_ci_u32_e32 v19, vcc_lo, v26, v19, vcc_lo
	v_add_co_u32 v22, vcc_lo, v25, v22
	s_wait_alu 0xfffd
	v_add_co_ci_u32_e32 v23, vcc_lo, v26, v23, vcc_lo
	s_wait_dscnt 0x2
	s_clause 0x1
	global_store_b64 v[12:13], v[0:1], off
	global_store_b64 v[14:15], v[2:3], off
	s_wait_dscnt 0x1
	s_clause 0x1
	global_store_b64 v[20:21], v[4:5], off
	global_store_b64 v[16:17], v[6:7], off
	;; [unrolled: 4-line block ×3, first 2 shown]
.LBB0_25:
	s_nop 0
	s_sendmsg sendmsg(MSG_DEALLOC_VGPRS)
	s_endpgm
	.section	.rodata,"a",@progbits
	.p2align	6, 0x0
	.amdhsa_kernel fft_rtc_fwd_len300_factors_10_10_3_wgs_60_tpt_30_halfLds_sp_op_CI_CI_unitstride_sbrr_C2R_dirReg
		.amdhsa_group_segment_fixed_size 0
		.amdhsa_private_segment_fixed_size 0
		.amdhsa_kernarg_size 104
		.amdhsa_user_sgpr_count 2
		.amdhsa_user_sgpr_dispatch_ptr 0
		.amdhsa_user_sgpr_queue_ptr 0
		.amdhsa_user_sgpr_kernarg_segment_ptr 1
		.amdhsa_user_sgpr_dispatch_id 0
		.amdhsa_user_sgpr_private_segment_size 0
		.amdhsa_wavefront_size32 1
		.amdhsa_uses_dynamic_stack 0
		.amdhsa_enable_private_segment 0
		.amdhsa_system_sgpr_workgroup_id_x 1
		.amdhsa_system_sgpr_workgroup_id_y 0
		.amdhsa_system_sgpr_workgroup_id_z 0
		.amdhsa_system_sgpr_workgroup_info 0
		.amdhsa_system_vgpr_workitem_id 0
		.amdhsa_next_free_vgpr 66
		.amdhsa_next_free_sgpr 39
		.amdhsa_reserve_vcc 1
		.amdhsa_float_round_mode_32 0
		.amdhsa_float_round_mode_16_64 0
		.amdhsa_float_denorm_mode_32 3
		.amdhsa_float_denorm_mode_16_64 3
		.amdhsa_fp16_overflow 0
		.amdhsa_workgroup_processor_mode 1
		.amdhsa_memory_ordered 1
		.amdhsa_forward_progress 0
		.amdhsa_round_robin_scheduling 0
		.amdhsa_exception_fp_ieee_invalid_op 0
		.amdhsa_exception_fp_denorm_src 0
		.amdhsa_exception_fp_ieee_div_zero 0
		.amdhsa_exception_fp_ieee_overflow 0
		.amdhsa_exception_fp_ieee_underflow 0
		.amdhsa_exception_fp_ieee_inexact 0
		.amdhsa_exception_int_div_zero 0
	.end_amdhsa_kernel
	.text
.Lfunc_end0:
	.size	fft_rtc_fwd_len300_factors_10_10_3_wgs_60_tpt_30_halfLds_sp_op_CI_CI_unitstride_sbrr_C2R_dirReg, .Lfunc_end0-fft_rtc_fwd_len300_factors_10_10_3_wgs_60_tpt_30_halfLds_sp_op_CI_CI_unitstride_sbrr_C2R_dirReg
                                        ; -- End function
	.section	.AMDGPU.csdata,"",@progbits
; Kernel info:
; codeLenInByte = 6868
; NumSgprs: 41
; NumVgprs: 66
; ScratchSize: 0
; MemoryBound: 0
; FloatMode: 240
; IeeeMode: 1
; LDSByteSize: 0 bytes/workgroup (compile time only)
; SGPRBlocks: 5
; VGPRBlocks: 8
; NumSGPRsForWavesPerEU: 41
; NumVGPRsForWavesPerEU: 66
; Occupancy: 16
; WaveLimiterHint : 1
; COMPUTE_PGM_RSRC2:SCRATCH_EN: 0
; COMPUTE_PGM_RSRC2:USER_SGPR: 2
; COMPUTE_PGM_RSRC2:TRAP_HANDLER: 0
; COMPUTE_PGM_RSRC2:TGID_X_EN: 1
; COMPUTE_PGM_RSRC2:TGID_Y_EN: 0
; COMPUTE_PGM_RSRC2:TGID_Z_EN: 0
; COMPUTE_PGM_RSRC2:TIDIG_COMP_CNT: 0
	.text
	.p2alignl 7, 3214868480
	.fill 96, 4, 3214868480
	.type	__hip_cuid_c6ba7fb77bca8575,@object ; @__hip_cuid_c6ba7fb77bca8575
	.section	.bss,"aw",@nobits
	.globl	__hip_cuid_c6ba7fb77bca8575
__hip_cuid_c6ba7fb77bca8575:
	.byte	0                               ; 0x0
	.size	__hip_cuid_c6ba7fb77bca8575, 1

	.ident	"AMD clang version 19.0.0git (https://github.com/RadeonOpenCompute/llvm-project roc-6.4.0 25133 c7fe45cf4b819c5991fe208aaa96edf142730f1d)"
	.section	".note.GNU-stack","",@progbits
	.addrsig
	.addrsig_sym __hip_cuid_c6ba7fb77bca8575
	.amdgpu_metadata
---
amdhsa.kernels:
  - .args:
      - .actual_access:  read_only
        .address_space:  global
        .offset:         0
        .size:           8
        .value_kind:     global_buffer
      - .offset:         8
        .size:           8
        .value_kind:     by_value
      - .actual_access:  read_only
        .address_space:  global
        .offset:         16
        .size:           8
        .value_kind:     global_buffer
      - .actual_access:  read_only
        .address_space:  global
        .offset:         24
        .size:           8
        .value_kind:     global_buffer
      - .actual_access:  read_only
        .address_space:  global
        .offset:         32
        .size:           8
        .value_kind:     global_buffer
      - .offset:         40
        .size:           8
        .value_kind:     by_value
      - .actual_access:  read_only
        .address_space:  global
        .offset:         48
        .size:           8
        .value_kind:     global_buffer
      - .actual_access:  read_only
        .address_space:  global
        .offset:         56
        .size:           8
        .value_kind:     global_buffer
      - .offset:         64
        .size:           4
        .value_kind:     by_value
      - .actual_access:  read_only
        .address_space:  global
        .offset:         72
        .size:           8
        .value_kind:     global_buffer
      - .actual_access:  read_only
        .address_space:  global
        .offset:         80
        .size:           8
        .value_kind:     global_buffer
      - .actual_access:  read_only
        .address_space:  global
        .offset:         88
        .size:           8
        .value_kind:     global_buffer
      - .actual_access:  write_only
        .address_space:  global
        .offset:         96
        .size:           8
        .value_kind:     global_buffer
    .group_segment_fixed_size: 0
    .kernarg_segment_align: 8
    .kernarg_segment_size: 104
    .language:       OpenCL C
    .language_version:
      - 2
      - 0
    .max_flat_workgroup_size: 60
    .name:           fft_rtc_fwd_len300_factors_10_10_3_wgs_60_tpt_30_halfLds_sp_op_CI_CI_unitstride_sbrr_C2R_dirReg
    .private_segment_fixed_size: 0
    .sgpr_count:     41
    .sgpr_spill_count: 0
    .symbol:         fft_rtc_fwd_len300_factors_10_10_3_wgs_60_tpt_30_halfLds_sp_op_CI_CI_unitstride_sbrr_C2R_dirReg.kd
    .uniform_work_group_size: 1
    .uses_dynamic_stack: false
    .vgpr_count:     66
    .vgpr_spill_count: 0
    .wavefront_size: 32
    .workgroup_processor_mode: 1
amdhsa.target:   amdgcn-amd-amdhsa--gfx1201
amdhsa.version:
  - 1
  - 2
...

	.end_amdgpu_metadata
